;; amdgpu-corpus repo=ROCm/rocFFT kind=compiled arch=gfx906 opt=O3
	.text
	.amdgcn_target "amdgcn-amd-amdhsa--gfx906"
	.amdhsa_code_object_version 6
	.protected	fft_rtc_back_len243_factors_9_9_3_wgs_108_tpt_27_halfLds_dim1_dp_op_CI_CI_unitstride_sbrr_R2C_dirReg ; -- Begin function fft_rtc_back_len243_factors_9_9_3_wgs_108_tpt_27_halfLds_dim1_dp_op_CI_CI_unitstride_sbrr_R2C_dirReg
	.globl	fft_rtc_back_len243_factors_9_9_3_wgs_108_tpt_27_halfLds_dim1_dp_op_CI_CI_unitstride_sbrr_R2C_dirReg
	.p2align	8
	.type	fft_rtc_back_len243_factors_9_9_3_wgs_108_tpt_27_halfLds_dim1_dp_op_CI_CI_unitstride_sbrr_R2C_dirReg,@function
fft_rtc_back_len243_factors_9_9_3_wgs_108_tpt_27_halfLds_dim1_dp_op_CI_CI_unitstride_sbrr_R2C_dirReg: ; @fft_rtc_back_len243_factors_9_9_3_wgs_108_tpt_27_halfLds_dim1_dp_op_CI_CI_unitstride_sbrr_R2C_dirReg
; %bb.0:
	s_load_dwordx2 s[8:9], s[4:5], 0x0
	s_load_dwordx2 s[0:1], s[4:5], 0x20
	v_mul_u32_u24_e32 v2, 0x97c, v0
	v_lshrrev_b32_e32 v1, 16, v2
	v_lshl_add_u32 v14, s6, 2, v1
	v_mov_b32_e32 v15, 0
	s_waitcnt lgkmcnt(0)
	v_cmp_gt_u64_e32 vcc, s[0:1], v[14:15]
	v_cmp_le_u64_e64 s[0:1], s[0:1], v[14:15]
	s_movk_i32 s2, 0x97c
	v_bfe_u32 v2, v2, 16, 2
                                        ; implicit-def: $vgpr19
                                        ; implicit-def: $vgpr12
                                        ; implicit-def: $vgpr15
                                        ; implicit-def: $vgpr17
	s_and_saveexec_b64 s[6:7], s[0:1]
	s_xor_b64 s[0:1], exec, s[6:7]
; %bb.1:
	v_mul_u32_u24_sdwa v1, v0, s2 dst_sel:DWORD dst_unused:UNUSED_PAD src0_sel:WORD_0 src1_sel:DWORD
	v_mov_b32_e32 v3, 27
	v_mul_lo_u16_sdwa v1, v1, v3 dst_sel:DWORD dst_unused:UNUSED_PAD src0_sel:WORD_1 src1_sel:DWORD
	v_sub_u16_e32 v12, v0, v1
	v_sub_u16_e32 v19, v0, v1
	v_add_u32_e32 v15, 27, v12
	v_add_u32_e32 v17, 54, v12
                                        ; implicit-def: $vgpr1
                                        ; implicit-def: $vgpr0
; %bb.2:
	s_or_saveexec_b64 s[2:3], s[0:1]
	s_load_dwordx2 s[6:7], s[4:5], 0x18
	v_mul_u32_u24_e32 v2, 0xf4, v2
	v_lshlrev_b32_e32 v2, 4, v2
	s_xor_b64 exec, exec, s[2:3]
	s_cbranch_execz .LBB0_4
; %bb.3:
	s_load_dwordx2 s[0:1], s[4:5], 0x10
	s_load_dwordx2 s[10:11], s[4:5], 0x50
	v_mul_lo_u16_e32 v11, 27, v1
	v_sub_u16_e32 v12, v0, v11
	v_sub_u16_e32 v19, v0, v11
	s_waitcnt lgkmcnt(0)
	s_load_dwordx2 s[0:1], s[0:1], 0x8
	v_add_u32_e32 v17, 54, v12
	s_waitcnt lgkmcnt(0)
	v_mad_u64_u32 v[3:4], s[12:13], s0, v14, 0
	v_mov_b32_e32 v1, v4
	v_mad_u64_u32 v[4:5], s[0:1], s1, v14, v[1:2]
	v_mov_b32_e32 v5, s11
	v_lshlrev_b32_e32 v1, 4, v12
	v_lshlrev_b64 v[3:4], 4, v[3:4]
	v_add3_u32 v0, 0, v2, v1
	v_add_co_u32_e64 v3, s[0:1], s10, v3
	v_addc_co_u32_e64 v4, s[0:1], v5, v4, s[0:1]
	v_add_co_u32_e64 v15, s[0:1], v3, v1
	v_addc_co_u32_e64 v16, s[0:1], 0, v4, s[0:1]
	global_load_dwordx4 v[3:6], v[15:16], off
	global_load_dwordx4 v[7:10], v[15:16], off offset:432
	global_load_dwordx4 v[20:23], v[15:16], off offset:864
	;; [unrolled: 1-line block ×8, first 2 shown]
	v_add_u32_e32 v15, 27, v12
	s_waitcnt vmcnt(8)
	ds_write_b128 v0, v[3:6]
	s_waitcnt vmcnt(7)
	ds_write_b128 v0, v[7:10] offset:432
	s_waitcnt vmcnt(6)
	ds_write_b128 v0, v[20:23] offset:864
	;; [unrolled: 2-line block ×8, first 2 shown]
.LBB0_4:
	s_or_b64 exec, exec, s[2:3]
	v_lshlrev_b32_e32 v0, 4, v12
	v_add3_u32 v1, 0, v0, v2
	s_waitcnt lgkmcnt(0)
	s_load_dwordx2 s[2:3], s[6:7], 0x8
	s_waitcnt lgkmcnt(0)
	s_barrier
	ds_read_b128 v[3:6], v1 offset:3456
	ds_read_b128 v[7:10], v1 offset:3024
	;; [unrolled: 1-line block ×4, first 2 shown]
	v_add_u32_e32 v20, 0, v2
	v_add_u32_e32 v21, v20, v0
	ds_read_b128 v[30:33], v21
	s_waitcnt lgkmcnt(2)
	v_add_f64 v[50:51], v[22:23], v[3:4]
	s_waitcnt lgkmcnt(1)
	v_add_f64 v[52:53], v[26:27], v[7:8]
	v_add_f64 v[54:55], v[24:25], v[5:6]
	;; [unrolled: 1-line block ×3, first 2 shown]
	ds_read_b128 v[34:37], v1 offset:1296
	ds_read_b128 v[38:41], v1 offset:2592
	ds_read_b128 v[42:45], v1 offset:1728
	ds_read_b128 v[46:49], v1 offset:2160
	s_mov_b32 s14, 0xa2cf5039
	s_mov_b32 s15, 0x3fe8836f
	;; [unrolled: 1-line block ×3, first 2 shown]
	s_waitcnt lgkmcnt(2)
	v_add_f64 v[58:59], v[34:35], v[38:39]
	v_add_f64 v[60:61], v[52:53], v[50:51]
	;; [unrolled: 1-line block ×4, first 2 shown]
	s_waitcnt lgkmcnt(0)
	v_add_f64 v[70:71], v[42:43], v[46:47]
	s_mov_b32 s1, 0x3fc63a1a
	v_add_f64 v[24:25], v[24:25], -v[5:6]
	s_mov_b32 s22, 0x523c161c
	s_mov_b32 s23, 0x3fe491b7
	v_add_f64 v[66:67], v[58:59], v[60:61]
	v_add_f64 v[22:23], v[22:23], -v[3:4]
	v_add_f64 v[68:69], v[62:63], v[64:65]
	v_fma_f64 v[72:73], v[70:71], s[14:15], v[30:31]
	v_add_f64 v[7:8], v[26:27], -v[7:8]
	v_add_f64 v[9:10], v[28:29], -v[9:10]
	v_fma_f64 v[26:27], v[50:51], s[14:15], v[30:31]
	v_add_f64 v[28:29], v[34:35], -v[38:39]
	v_add_f64 v[66:67], v[42:43], v[66:67]
	v_add_f64 v[34:35], v[36:37], -v[40:41]
	v_add_f64 v[68:69], v[44:45], v[68:69]
	v_fma_f64 v[72:73], v[50:51], s[0:1], v[72:73]
	v_add_f64 v[38:39], v[42:43], -v[46:47]
	v_add_f64 v[40:41], v[44:45], -v[48:49]
	v_add_f64 v[42:43], v[44:45], v[48:49]
	v_mul_f64 v[44:45], v[24:25], s[22:23]
	v_add_f64 v[66:67], v[46:47], v[66:67]
	s_mov_b32 s12, 0x42522d1b
	v_add_f64 v[68:69], v[48:49], v[68:69]
	v_fma_f64 v[36:37], v[58:59], -0.5, v[72:73]
	s_mov_b32 s18, 0x8c811c17
	v_lshl_add_u32 v11, v12, 7, v1
	s_mov_b32 s13, 0xbfee11f6
	s_mov_b32 s21, 0xbfe491b7
	v_add_f64 v[3:4], v[30:31], v[66:67]
	s_mov_b32 s20, s22
	v_add_f64 v[5:6], v[32:33], v[68:69]
	s_mov_b32 s19, 0x3fef838b
	s_barrier
	v_add_f64 v[48:49], v[70:71], v[60:61]
	v_fma_f64 v[44:45], v[9:10], s[18:19], v[44:45]
	s_mov_b32 s7, 0x3febb67a
	ds_write_b128 v11, v[3:6]
	v_fma_f64 v[3:4], v[52:53], s[0:1], v[26:27]
	v_fma_f64 v[5:6], v[52:53], s[12:13], v[36:37]
	v_fma_f64 v[26:27], v[52:53], s[14:15], v[30:31]
	v_add_f64 v[30:31], v[30:31], v[58:59]
	v_mul_f64 v[52:53], v[40:41], s[20:21]
	v_fma_f64 v[36:37], v[54:55], s[14:15], v[32:33]
	s_mov_b32 s6, 0xe8584cab
	v_add_f64 v[46:47], v[32:33], v[62:63]
	v_add_f64 v[60:61], v[42:43], v[64:65]
	v_fma_f64 v[44:45], v[34:35], s[6:7], v[44:45]
	s_mov_b32 s16, 0x748a0bf8
	v_fma_f64 v[30:31], v[48:49], -0.5, v[30:31]
	v_fma_f64 v[48:49], v[24:25], s[18:19], v[52:53]
	v_fma_f64 v[36:37], v[56:57], s[0:1], v[36:37]
	s_mov_b32 s17, 0x3fd5e3a8
	s_mov_b32 s11, 0xbfebb67a
	s_mov_b32 s10, s6
	v_fma_f64 v[64:65], v[42:43], s[14:15], v[32:33]
	v_fma_f64 v[32:33], v[56:57], s[14:15], v[32:33]
	v_fma_f64 v[46:47], v[60:61], -0.5, v[46:47]
	v_fma_f64 v[48:49], v[34:35], s[10:11], v[48:49]
	v_fma_f64 v[44:45], v[40:41], s[16:17], v[44:45]
	v_add_f64 v[52:53], v[40:41], v[24:25]
	v_mul_f64 v[40:41], v[40:41], s[18:19]
	v_mul_f64 v[60:61], v[22:23], s[22:23]
	;; [unrolled: 1-line block ×3, first 2 shown]
	v_fma_f64 v[36:37], v[62:63], -0.5, v[36:37]
	v_mul_f64 v[68:69], v[38:39], s[20:21]
	v_fma_f64 v[48:49], v[9:10], s[16:17], v[48:49]
	v_fma_f64 v[26:27], v[70:71], s[0:1], v[26:27]
	v_add_f64 v[52:53], v[52:53], -v[9:10]
	v_fma_f64 v[9:10], v[9:10], s[20:21], -v[40:41]
	v_fma_f64 v[40:41], v[7:8], s[18:19], v[60:61]
	v_fma_f64 v[60:61], v[7:8], s[20:21], -v[66:67]
	v_fma_f64 v[32:33], v[42:43], s[0:1], v[32:33]
	v_fma_f64 v[36:37], v[42:43], s[12:13], v[36:37]
	;; [unrolled: 1-line block ×4, first 2 shown]
	v_fma_f64 v[3:4], v[58:59], -0.5, v[3:4]
	v_fma_f64 v[9:10], v[34:35], s[6:7], v[9:10]
	v_fma_f64 v[40:41], v[28:29], s[6:7], v[40:41]
	;; [unrolled: 1-line block ×3, first 2 shown]
	v_fma_f64 v[26:27], v[58:59], -0.5, v[26:27]
	v_fma_f64 v[32:33], v[62:63], -0.5, v[32:33]
	v_add_f64 v[34:35], v[38:39], v[22:23]
	v_fma_f64 v[28:29], v[28:29], s[10:11], v[66:67]
	v_fma_f64 v[42:43], v[62:63], -0.5, v[42:43]
	v_fma_f64 v[3:4], v[70:71], s[12:13], v[3:4]
	v_fma_f64 v[58:59], v[38:39], s[16:17], v[40:41]
	;; [unrolled: 1-line block ×6, first 2 shown]
	v_add_f64 v[9:10], v[34:35], -v[7:8]
	v_fma_f64 v[50:51], v[7:8], s[16:17], v[28:29]
	v_fma_f64 v[34:35], v[56:57], s[12:13], v[42:43]
	v_add_f64 v[3:4], v[3:4], -v[44:45]
	v_fma_f64 v[22:23], v[52:53], s[10:11], v[30:31]
	v_mul_f64 v[38:39], v[52:53], s[6:7]
	v_add_f64 v[26:27], v[26:27], -v[60:61]
	v_add_f64 v[28:29], v[40:41], v[32:33]
	v_fma_f64 v[24:25], v[9:10], s[6:7], v[46:47]
	v_mul_f64 v[32:33], v[9:10], s[6:7]
	v_add_f64 v[7:8], v[5:6], -v[48:49]
	v_add_f64 v[9:10], v[50:51], v[34:35]
	v_add_f64 v[5:6], v[58:59], v[36:37]
	v_fma_f64 v[30:31], v[44:45], 2.0, v[3:4]
	v_fma_f64 v[42:43], v[60:61], 2.0, v[26:27]
	v_fma_f64 v[44:45], v[40:41], -2.0, v[28:29]
	v_fma_f64 v[38:39], v[38:39], 2.0, v[22:23]
	v_fma_f64 v[40:41], v[32:33], -2.0, v[24:25]
	;; [unrolled: 2-line block ×3, first 2 shown]
	v_fma_f64 v[32:33], v[58:59], -2.0, v[5:6]
	ds_write_b128 v11, v[3:6] offset:16
	ds_write_b128 v11, v[7:10] offset:32
	;; [unrolled: 1-line block ×8, first 2 shown]
	v_mov_b32_e32 v3, 57
	v_mul_lo_u16_sdwa v3, v19, v3 dst_sel:DWORD dst_unused:UNUSED_PAD src0_sel:BYTE_0 src1_sel:DWORD
	v_lshrrev_b16_e32 v11, 9, v3
	v_mul_lo_u16_e32 v3, 9, v11
	v_sub_u16_e32 v13, v19, v3
	v_mov_b32_e32 v3, 7
	v_lshlrev_b32_sdwa v16, v3, v13 dst_sel:DWORD dst_unused:UNUSED_PAD src0_sel:DWORD src1_sel:BYTE_0
	s_waitcnt lgkmcnt(0)
	s_barrier
	global_load_dwordx4 v[3:6], v16, s[8:9]
	global_load_dwordx4 v[7:10], v16, s[8:9] offset:16
	global_load_dwordx4 v[24:27], v16, s[8:9] offset:112
	;; [unrolled: 1-line block ×7, first 2 shown]
	v_lshl_add_u32 v23, v15, 4, v20
	ds_read_b128 v[48:51], v23
	v_lshl_add_u32 v22, v17, 4, v20
	ds_read_b128 v[52:55], v22
	ds_read_b128 v[56:59], v1 offset:3456
	s_movk_i32 s24, 0x510
	s_waitcnt vmcnt(7) lgkmcnt(2)
	v_mul_f64 v[60:61], v[50:51], v[5:6]
	v_mul_f64 v[5:6], v[48:49], v[5:6]
	s_waitcnt vmcnt(6) lgkmcnt(1)
	v_mul_f64 v[62:63], v[54:55], v[9:10]
	v_mul_f64 v[9:10], v[52:53], v[9:10]
	;; [unrolled: 3-line block ×3, first 2 shown]
	v_fma_f64 v[64:65], v[48:49], v[3:4], v[60:61]
	v_fma_f64 v[66:67], v[50:51], v[3:4], -v[5:6]
	v_fma_f64 v[52:53], v[52:53], v[7:8], v[62:63]
	ds_read_b128 v[3:6], v1 offset:2592
	ds_read_b128 v[48:51], v1 offset:3024
	ds_read_b128 v[60:63], v1 offset:1296
	v_fma_f64 v[56:57], v[56:57], v[24:25], v[68:69]
	v_fma_f64 v[58:59], v[58:59], v[24:25], -v[26:27]
	s_waitcnt vmcnt(2) lgkmcnt(2)
	v_mul_f64 v[24:25], v[5:6], v[38:39]
	s_waitcnt lgkmcnt(1)
	v_mul_f64 v[72:73], v[50:51], v[34:35]
	v_mul_f64 v[34:35], v[48:49], v[34:35]
	s_waitcnt lgkmcnt(0)
	v_mul_f64 v[70:71], v[62:63], v[30:31]
	v_mul_f64 v[30:31], v[60:61], v[30:31]
	;; [unrolled: 1-line block ×3, first 2 shown]
	v_fma_f64 v[54:55], v[54:55], v[7:8], -v[9:10]
	ds_read_b128 v[7:10], v21
	v_fma_f64 v[38:39], v[48:49], v[32:33], v[72:73]
	v_fma_f64 v[32:33], v[50:51], v[32:33], -v[34:35]
	v_fma_f64 v[48:49], v[60:61], v[28:29], v[70:71]
	v_fma_f64 v[28:29], v[62:63], v[28:29], -v[30:31]
	;; [unrolled: 2-line block ×3, first 2 shown]
	ds_read_b128 v[3:6], v1 offset:1728
	ds_read_b128 v[24:27], v1 offset:2160
	v_add_f64 v[36:37], v[64:65], v[56:57]
	v_add_f64 v[50:51], v[52:53], v[38:39]
	;; [unrolled: 1-line block ×4, first 2 shown]
	s_waitcnt vmcnt(1) lgkmcnt(1)
	v_mul_f64 v[68:69], v[5:6], v[42:43]
	v_mul_f64 v[42:43], v[3:4], v[42:43]
	v_add_f64 v[70:71], v[48:49], v[30:31]
	v_add_f64 v[74:75], v[28:29], v[34:35]
	s_waitcnt lgkmcnt(0)
	v_add_f64 v[72:73], v[50:51], v[36:37]
	s_waitcnt vmcnt(0)
	s_barrier
	v_add_f64 v[76:77], v[62:63], v[60:61]
	v_fma_f64 v[68:69], v[3:4], v[40:41], v[68:69]
	v_mul_f64 v[3:4], v[26:27], v[46:47]
	v_fma_f64 v[5:6], v[5:6], v[40:41], -v[42:43]
	v_mul_f64 v[40:41], v[24:25], v[46:47]
	v_add_f64 v[42:43], v[70:71], v[72:73]
	v_add_f64 v[32:33], v[54:55], -v[32:33]
	v_add_f64 v[46:47], v[74:75], v[76:77]
	v_add_f64 v[30:31], v[48:49], -v[30:31]
	v_fma_f64 v[78:79], v[24:25], v[44:45], v[3:4]
	v_add_f64 v[28:29], v[28:29], -v[34:35]
	v_fma_f64 v[40:41], v[26:27], v[44:45], -v[40:41]
	v_add_f64 v[54:55], v[9:10], v[74:75]
	v_add_f64 v[3:4], v[68:69], v[42:43]
	;; [unrolled: 1-line block ×3, first 2 shown]
	v_fma_f64 v[46:47], v[36:37], s[14:15], v[7:8]
	v_add_f64 v[42:43], v[68:69], v[78:79]
	v_add_f64 v[34:35], v[68:69], -v[78:79]
	v_add_f64 v[3:4], v[78:79], v[3:4]
	v_add_f64 v[26:27], v[40:41], v[24:25]
	v_fma_f64 v[46:47], v[50:51], s[0:1], v[46:47]
	v_fma_f64 v[44:45], v[42:43], s[14:15], v[7:8]
	v_mul_f64 v[68:69], v[34:35], s[20:21]
	v_add_f64 v[24:25], v[7:8], v[3:4]
	v_mov_b32_e32 v4, 4
	v_mad_u32_u24 v3, v11, s24, 0
	v_lshlrev_b32_sdwa v11, v4, v13 dst_sel:DWORD dst_unused:UNUSED_PAD src0_sel:DWORD src1_sel:BYTE_0
	v_add_f64 v[26:27], v[9:10], v[26:27]
	v_add3_u32 v11, v3, v11, v2
	v_fma_f64 v[2:3], v[36:37], s[0:1], v[44:45]
	v_add_f64 v[44:45], v[66:67], -v[58:59]
	v_mul_f64 v[66:67], v[34:35], s[18:19]
	v_fma_f64 v[46:47], v[70:71], -0.5, v[46:47]
	ds_write_b128 v11, v[24:27]
	v_add_f64 v[26:27], v[52:53], -v[38:39]
	v_add_f64 v[38:39], v[5:6], -v[40:41]
	v_mul_f64 v[52:53], v[44:45], s[22:23]
	v_add_f64 v[24:25], v[64:65], -v[56:57]
	v_add_f64 v[5:6], v[5:6], v[40:41]
	v_add_f64 v[56:57], v[42:43], v[72:73]
	v_fma_f64 v[64:65], v[60:61], s[14:15], v[9:10]
	v_fma_f64 v[2:3], v[70:71], -0.5, v[2:3]
	v_fma_f64 v[46:47], v[42:43], s[12:13], v[46:47]
	v_mul_f64 v[40:41], v[38:39], s[20:21]
	v_fma_f64 v[48:49], v[32:33], s[18:19], v[52:53]
	v_add_f64 v[52:53], v[7:8], v[70:71]
	v_add_f64 v[58:59], v[5:6], v[76:77]
	v_fma_f64 v[7:8], v[50:51], s[14:15], v[7:8]
	v_fma_f64 v[2:3], v[50:51], s[12:13], v[2:3]
	v_fma_f64 v[50:51], v[5:6], s[14:15], v[9:10]
	v_fma_f64 v[40:41], v[44:45], s[18:19], v[40:41]
	v_fma_f64 v[48:49], v[28:29], s[6:7], v[48:49]
	v_fma_f64 v[52:53], v[56:57], -0.5, v[52:53]
	v_fma_f64 v[56:57], v[62:63], s[0:1], v[64:65]
	v_fma_f64 v[9:10], v[62:63], s[14:15], v[9:10]
	v_fma_f64 v[54:55], v[58:59], -0.5, v[54:55]
	v_add_f64 v[58:59], v[38:39], v[44:45]
	v_mul_f64 v[64:65], v[24:25], s[22:23]
	v_fma_f64 v[40:41], v[28:29], s[10:11], v[40:41]
	v_fma_f64 v[48:49], v[38:39], s[16:17], v[48:49]
	v_mul_f64 v[38:39], v[38:39], s[18:19]
	v_fma_f64 v[56:57], v[74:75], -0.5, v[56:57]
	v_fma_f64 v[7:8], v[42:43], s[0:1], v[7:8]
	v_fma_f64 v[50:51], v[60:61], s[0:1], v[50:51]
	v_add_f64 v[58:59], v[58:59], -v[32:33]
	v_fma_f64 v[40:41], v[32:33], s[16:17], v[40:41]
	v_fma_f64 v[32:33], v[32:33], s[20:21], -v[38:39]
	v_fma_f64 v[38:39], v[26:27], s[18:19], v[64:65]
	v_fma_f64 v[64:65], v[26:27], s[20:21], -v[66:67]
	v_fma_f64 v[42:43], v[5:6], s[12:13], v[56:57]
	v_fma_f64 v[5:6], v[5:6], s[0:1], v[9:10]
	;; [unrolled: 1-line block ×3, first 2 shown]
	v_fma_f64 v[7:8], v[70:71], -0.5, v[7:8]
	v_fma_f64 v[28:29], v[28:29], s[6:7], v[32:33]
	v_fma_f64 v[38:39], v[30:31], s[6:7], v[38:39]
	v_fma_f64 v[56:57], v[30:31], s[6:7], v[64:65]
	v_add_f64 v[32:33], v[34:35], v[24:25]
	v_fma_f64 v[5:6], v[74:75], -0.5, v[5:6]
	v_fma_f64 v[9:10], v[30:31], s[10:11], v[9:10]
	v_fma_f64 v[30:31], v[74:75], -0.5, v[50:51]
	v_fma_f64 v[7:8], v[36:37], s[12:13], v[7:8]
	v_fma_f64 v[44:45], v[44:45], s[16:17], v[28:29]
	;; [unrolled: 1-line block ×4, first 2 shown]
	v_add_f64 v[56:57], v[32:33], -v[26:27]
	v_fma_f64 v[34:35], v[60:61], s[12:13], v[5:6]
	v_fma_f64 v[9:10], v[26:27], s[16:17], v[9:10]
	;; [unrolled: 1-line block ×3, first 2 shown]
	v_add_f64 v[5:6], v[46:47], -v[48:49]
	v_add_f64 v[32:33], v[7:8], -v[44:45]
	v_add_f64 v[24:25], v[2:3], -v[40:41]
	v_fma_f64 v[28:29], v[58:59], s[10:11], v[52:53]
	v_fma_f64 v[30:31], v[56:57], s[6:7], v[54:55]
	v_add_f64 v[34:35], v[50:51], v[34:35]
	v_mul_f64 v[2:3], v[58:59], s[6:7]
	v_mul_f64 v[52:53], v[56:57], s[6:7]
	v_add_f64 v[26:27], v[9:10], v[26:27]
	v_add_f64 v[7:8], v[38:39], v[42:43]
	v_fma_f64 v[44:45], v[44:45], 2.0, v[32:33]
	v_fma_f64 v[36:37], v[48:49], 2.0, v[5:6]
	;; [unrolled: 1-line block ×3, first 2 shown]
	v_fma_f64 v[46:47], v[50:51], -2.0, v[34:35]
	v_fma_f64 v[48:49], v[2:3], 2.0, v[28:29]
	v_fma_f64 v[50:51], v[52:53], -2.0, v[30:31]
	v_fma_f64 v[42:43], v[9:10], -2.0, v[26:27]
	;; [unrolled: 1-line block ×3, first 2 shown]
	v_lshlrev_b32_e32 v2, 1, v12
	v_mov_b32_e32 v3, 0
	ds_write_b128 v11, v[5:8] offset:144
	ds_write_b128 v11, v[24:27] offset:288
	ds_write_b128 v11, v[28:31] offset:432
	ds_write_b128 v11, v[32:35] offset:576
	ds_write_b128 v11, v[44:47] offset:720
	ds_write_b128 v11, v[48:51] offset:864
	ds_write_b128 v11, v[40:43] offset:1008
	ds_write_b128 v11, v[36:39] offset:1152
	v_lshlrev_b64 v[5:6], 4, v[2:3]
	v_mov_b32_e32 v11, s9
	v_add_co_u32_e64 v9, s[0:1], s8, v5
	v_addc_co_u32_e64 v10, s[0:1], v11, v6, s[0:1]
	v_lshlrev_b32_e32 v2, 1, v15
	s_waitcnt lgkmcnt(0)
	s_barrier
	global_load_dwordx4 v[5:8], v[9:10], off offset:1152
	global_load_dwordx4 v[24:27], v[9:10], off offset:1168
	v_lshlrev_b64 v[9:10], 4, v[2:3]
	v_lshlrev_b32_e32 v2, 1, v17
	v_add_co_u32_e64 v9, s[0:1], s8, v9
	v_addc_co_u32_e64 v10, s[0:1], v11, v10, s[0:1]
	global_load_dwordx4 v[28:31], v[9:10], off offset:1152
	global_load_dwordx4 v[32:35], v[9:10], off offset:1168
	v_lshlrev_b64 v[2:3], 4, v[2:3]
	s_mov_b32 s10, 0xe8584caa
	v_add_co_u32_e64 v2, s[0:1], s8, v2
	v_addc_co_u32_e64 v3, s[0:1], v11, v3, s[0:1]
	global_load_dwordx4 v[36:39], v[2:3], off offset:1152
	global_load_dwordx4 v[40:43], v[2:3], off offset:1168
	ds_read_b128 v[44:47], v1 offset:1296
	ds_read_b128 v[48:51], v21
	ds_read_b128 v[52:55], v1 offset:2592
	s_mov_b32 s6, s10
	v_cmp_ne_u16_e64 s[0:1], 0, v19
	s_waitcnt vmcnt(5) lgkmcnt(2)
	v_mul_f64 v[2:3], v[46:47], v[7:8]
	v_mul_f64 v[64:65], v[44:45], v[7:8]
	ds_read_b128 v[7:10], v1 offset:1728
	ds_read_b128 v[56:59], v1 offset:3024
	s_waitcnt vmcnt(4) lgkmcnt(2)
	v_mul_f64 v[66:67], v[54:55], v[26:27]
	v_mul_f64 v[26:27], v[52:53], v[26:27]
	ds_read_b128 v[60:63], v1 offset:2160
	s_waitcnt vmcnt(3) lgkmcnt(2)
	v_mul_f64 v[68:69], v[9:10], v[30:31]
	v_mul_f64 v[30:31], v[7:8], v[30:31]
	v_fma_f64 v[2:3], v[44:45], v[5:6], v[2:3]
	v_fma_f64 v[44:45], v[46:47], v[5:6], -v[64:65]
	s_waitcnt vmcnt(2) lgkmcnt(1)
	v_mul_f64 v[46:47], v[58:59], v[34:35]
	v_fma_f64 v[52:53], v[52:53], v[24:25], v[66:67]
	v_mul_f64 v[34:35], v[56:57], v[34:35]
	v_fma_f64 v[54:55], v[54:55], v[24:25], -v[26:27]
	v_fma_f64 v[64:65], v[7:8], v[28:29], v[68:69]
	ds_read_b128 v[5:8], v1 offset:3456
	v_fma_f64 v[9:10], v[9:10], v[28:29], -v[30:31]
	s_waitcnt vmcnt(1) lgkmcnt(1)
	v_mul_f64 v[28:29], v[62:63], v[38:39]
	v_fma_f64 v[46:47], v[56:57], v[32:33], v[46:47]
	v_mul_f64 v[30:31], v[60:61], v[38:39]
	v_fma_f64 v[56:57], v[58:59], v[32:33], -v[34:35]
	s_waitcnt vmcnt(0) lgkmcnt(0)
	v_mul_f64 v[32:33], v[7:8], v[42:43]
	v_add_f64 v[34:35], v[2:3], v[52:53]
	v_add_f64 v[38:39], v[44:45], v[54:55]
	ds_read_b128 v[24:27], v23
	v_fma_f64 v[58:59], v[60:61], v[36:37], v[28:29]
	v_mul_f64 v[28:29], v[5:6], v[42:43]
	v_fma_f64 v[42:43], v[62:63], v[36:37], -v[30:31]
	v_add_f64 v[30:31], v[50:51], v[44:45]
	v_add_f64 v[36:37], v[48:49], v[2:3]
	v_fma_f64 v[60:61], v[5:6], v[40:41], v[32:33]
	v_fma_f64 v[32:33], v[34:35], -0.5, v[48:49]
	v_add_f64 v[34:35], v[44:45], -v[54:55]
	v_fma_f64 v[38:39], v[38:39], -0.5, v[50:51]
	v_add_f64 v[2:3], v[2:3], -v[52:53]
	v_add_f64 v[44:45], v[64:65], v[46:47]
	v_fma_f64 v[40:41], v[7:8], v[40:41], -v[28:29]
	v_add_f64 v[7:8], v[30:31], v[54:55]
	v_add_f64 v[5:6], v[36:37], v[52:53]
	;; [unrolled: 1-line block ×3, first 2 shown]
	v_fma_f64 v[28:29], v[34:35], s[10:11], v[32:33]
	v_fma_f64 v[32:33], v[34:35], s[6:7], v[32:33]
	;; [unrolled: 1-line block ×4, first 2 shown]
	ds_read_b128 v[36:39], v22
	v_add_f64 v[2:3], v[9:10], v[56:57]
	s_waitcnt lgkmcnt(1)
	v_fma_f64 v[44:45], v[44:45], -0.5, v[24:25]
	v_add_f64 v[48:49], v[26:27], v[9:10]
	v_add_f64 v[24:25], v[24:25], v[64:65]
	v_add_f64 v[9:10], v[9:10], -v[56:57]
	v_add_f64 v[52:53], v[64:65], -v[46:47]
	s_waitcnt lgkmcnt(0)
	s_barrier
	v_fma_f64 v[2:3], v[2:3], -0.5, v[26:27]
	v_add_f64 v[26:27], v[42:43], v[40:41]
	ds_write_b128 v1, v[5:8]
	v_add_f64 v[7:8], v[48:49], v[56:57]
	v_add_f64 v[5:6], v[24:25], v[46:47]
	v_fma_f64 v[46:47], v[50:51], -0.5, v[36:37]
	v_add_f64 v[48:49], v[38:39], v[42:43]
	v_add_f64 v[50:51], v[36:37], v[58:59]
	v_add_f64 v[54:55], v[42:43], -v[40:41]
	v_fma_f64 v[56:57], v[26:27], -0.5, v[38:39]
	v_add_f64 v[58:59], v[58:59], -v[60:61]
	v_fma_f64 v[24:25], v[9:10], s[10:11], v[44:45]
	v_fma_f64 v[26:27], v[52:53], s[6:7], v[2:3]
	;; [unrolled: 1-line block ×4, first 2 shown]
	v_add_f64 v[42:43], v[48:49], v[40:41]
	v_add_f64 v[40:41], v[50:51], v[60:61]
	v_fma_f64 v[44:45], v[54:55], s[10:11], v[46:47]
	v_fma_f64 v[48:49], v[54:55], s[6:7], v[46:47]
	;; [unrolled: 1-line block ×4, first 2 shown]
	ds_write_b128 v1, v[28:31] offset:1296
	ds_write_b128 v1, v[32:35] offset:2592
	ds_write_b128 v23, v[5:8]
	ds_write_b128 v23, v[24:27] offset:1296
	ds_write_b128 v23, v[36:39] offset:2592
	ds_write_b128 v22, v[40:43]
	ds_write_b128 v22, v[44:47] offset:1296
	ds_write_b128 v22, v[48:51] offset:2592
	s_waitcnt lgkmcnt(0)
	s_barrier
	ds_read_b128 v[8:11], v21
	v_sub_u32_e32 v24, v20, v0
                                        ; implicit-def: $vgpr2_vgpr3
                                        ; implicit-def: $vgpr6_vgpr7
	s_and_saveexec_b64 s[6:7], s[0:1]
	s_xor_b64 s[0:1], exec, s[6:7]
	s_cbranch_execz .LBB0_6
; %bb.5:
	v_lshlrev_b32_sdwa v0, v4, v19 dst_sel:DWORD dst_unused:UNUSED_PAD src0_sel:DWORD src1_sel:WORD_0
	global_load_dwordx4 v[2:5], v0, s[8:9] offset:3744
	ds_read_b128 v[25:28], v24 offset:3888
	s_waitcnt lgkmcnt(0)
	v_add_f64 v[0:1], v[8:9], -v[25:26]
	v_add_f64 v[6:7], v[10:11], v[27:28]
	v_add_f64 v[10:11], v[10:11], -v[27:28]
	v_mul_f64 v[27:28], v[0:1], 0.5
	v_add_f64 v[0:1], v[8:9], v[25:26]
	v_mul_f64 v[8:9], v[6:7], 0.5
	v_mul_f64 v[6:7], v[10:11], 0.5
	s_waitcnt vmcnt(0)
	v_mul_f64 v[10:11], v[27:28], v[4:5]
	v_fma_f64 v[25:26], v[8:9], v[4:5], v[6:7]
	v_fma_f64 v[29:30], v[0:1], 0.5, v[10:11]
	v_fma_f64 v[0:1], v[0:1], 0.5, -v[10:11]
	v_fma_f64 v[10:11], v[8:9], v[4:5], -v[6:7]
	v_fma_f64 v[6:7], -v[2:3], v[27:28], v[25:26]
	v_fma_f64 v[4:5], v[8:9], v[2:3], v[29:30]
	v_fma_f64 v[0:1], -v[8:9], v[2:3], v[0:1]
	v_fma_f64 v[2:3], -v[2:3], v[27:28], v[10:11]
                                        ; implicit-def: $vgpr8_vgpr9
.LBB0_6:
	s_andn2_saveexec_b64 s[0:1], s[0:1]
	s_cbranch_execz .LBB0_8
; %bb.7:
	s_waitcnt lgkmcnt(0)
	v_add_f64 v[4:5], v[8:9], v[10:11]
	v_add_f64 v[0:1], v[8:9], -v[10:11]
	v_mov_b32_e32 v6, 0
	v_mov_b32_e32 v7, 0
	;; [unrolled: 1-line block ×4, first 2 shown]
.LBB0_8:
	s_or_b64 exec, exec, s[0:1]
	v_mov_b32_e32 v16, 0
	s_waitcnt lgkmcnt(0)
	v_lshlrev_b64 v[8:9], 4, v[15:16]
	v_mov_b32_e32 v10, s9
	v_add_co_u32_e64 v8, s[0:1], s8, v8
	v_addc_co_u32_e64 v9, s[0:1], v10, v9, s[0:1]
	global_load_dwordx4 v[8:11], v[8:9], off offset:3744
	v_mov_b32_e32 v18, v16
	v_lshlrev_b64 v[17:18], 4, v[17:18]
	v_mov_b32_e32 v13, s9
	v_add_co_u32_e64 v17, s[0:1], s8, v17
	v_addc_co_u32_e64 v18, s[0:1], v13, v18, s[0:1]
	global_load_dwordx4 v[25:28], v[17:18], off offset:3744
	ds_write_b128 v21, v[4:7]
	ds_write_b128 v24, v[0:3] offset:3888
	ds_read_b128 v[0:3], v23
	ds_read_b128 v[4:7], v24 offset:3456
	v_mov_b32_e32 v13, v16
	s_add_u32 s0, s8, 0xea0
	v_lshlrev_b64 v[15:16], 4, v[12:13]
	s_addc_u32 s1, s9, 0
	s_waitcnt lgkmcnt(0)
	v_add_f64 v[17:18], v[0:1], -v[4:5]
	v_add_f64 v[29:30], v[2:3], v[6:7]
	v_add_f64 v[2:3], v[2:3], -v[6:7]
	v_add_f64 v[0:1], v[0:1], v[4:5]
	v_mov_b32_e32 v13, s1
	v_mul_f64 v[6:7], v[17:18], 0.5
	v_mul_f64 v[29:30], v[29:30], 0.5
	;; [unrolled: 1-line block ×3, first 2 shown]
	s_waitcnt vmcnt(1)
	v_mul_f64 v[4:5], v[6:7], v[10:11]
	v_fma_f64 v[17:18], v[29:30], v[10:11], v[2:3]
	v_fma_f64 v[10:11], v[29:30], v[10:11], -v[2:3]
	v_fma_f64 v[31:32], v[0:1], 0.5, v[4:5]
	v_fma_f64 v[33:34], v[0:1], 0.5, -v[4:5]
	v_add_co_u32_e64 v0, s[0:1], s0, v15
	v_addc_co_u32_e64 v1, s[0:1], v13, v16, s[0:1]
	global_load_dwordx4 v[2:5], v[0:1], off offset:1296
	v_fma_f64 v[17:18], -v[8:9], v[6:7], v[17:18]
	v_fma_f64 v[15:16], v[29:30], v[8:9], v[31:32]
	v_fma_f64 v[10:11], -v[8:9], v[6:7], v[10:11]
	v_fma_f64 v[8:9], -v[29:30], v[8:9], v[33:34]
	v_cmp_gt_u16_e64 s[0:1], 14, v19
	ds_write_b128 v23, v[15:18]
	ds_write_b128 v24, v[8:11] offset:3456
	ds_read_b128 v[6:9], v22
	ds_read_b128 v[15:18], v24 offset:3024
	s_waitcnt lgkmcnt(0)
	v_add_f64 v[10:11], v[6:7], -v[15:16]
	v_add_f64 v[29:30], v[8:9], v[17:18]
	v_add_f64 v[8:9], v[8:9], -v[17:18]
	v_add_f64 v[6:7], v[6:7], v[15:16]
	v_mul_f64 v[10:11], v[10:11], 0.5
	v_mul_f64 v[29:30], v[29:30], 0.5
	;; [unrolled: 1-line block ×3, first 2 shown]
	s_waitcnt vmcnt(1)
	v_mul_f64 v[15:16], v[10:11], v[27:28]
	v_fma_f64 v[17:18], v[29:30], v[27:28], v[8:9]
	v_fma_f64 v[27:28], v[29:30], v[27:28], -v[8:9]
	v_fma_f64 v[31:32], v[6:7], 0.5, v[15:16]
	v_fma_f64 v[15:16], v[6:7], 0.5, -v[15:16]
	v_fma_f64 v[8:9], -v[25:26], v[10:11], v[17:18]
	v_fma_f64 v[17:18], -v[25:26], v[10:11], v[27:28]
	v_fma_f64 v[6:7], v[29:30], v[25:26], v[31:32]
	v_fma_f64 v[15:16], -v[29:30], v[25:26], v[15:16]
	ds_write_b128 v22, v[6:9]
	ds_write_b128 v24, v[15:18] offset:3024
	ds_read_b128 v[6:9], v21 offset:1296
	ds_read_b128 v[15:18], v24 offset:2592
	s_waitcnt lgkmcnt(0)
	v_add_f64 v[10:11], v[6:7], -v[15:16]
	v_add_f64 v[22:23], v[8:9], v[17:18]
	v_add_f64 v[8:9], v[8:9], -v[17:18]
	v_add_f64 v[6:7], v[6:7], v[15:16]
	v_mul_f64 v[10:11], v[10:11], 0.5
	v_mul_f64 v[17:18], v[22:23], 0.5
	;; [unrolled: 1-line block ×3, first 2 shown]
	s_waitcnt vmcnt(0)
	v_mul_f64 v[15:16], v[10:11], v[4:5]
	v_fma_f64 v[22:23], v[17:18], v[4:5], v[8:9]
	v_fma_f64 v[4:5], v[17:18], v[4:5], -v[8:9]
	v_fma_f64 v[8:9], v[6:7], 0.5, v[15:16]
	v_fma_f64 v[15:16], v[6:7], 0.5, -v[15:16]
	v_fma_f64 v[6:7], -v[2:3], v[10:11], v[22:23]
	v_fma_f64 v[10:11], -v[2:3], v[10:11], v[4:5]
	v_fma_f64 v[4:5], v[17:18], v[2:3], v[8:9]
	v_fma_f64 v[8:9], -v[17:18], v[2:3], v[15:16]
	ds_write_b128 v21, v[4:7] offset:1296
	ds_write_b128 v24, v[8:11] offset:2592
	s_and_saveexec_b64 s[6:7], s[0:1]
	s_cbranch_execz .LBB0_10
; %bb.9:
	global_load_dwordx4 v[0:3], v[0:1], off offset:1728
	ds_read_b128 v[4:7], v21 offset:1728
	ds_read_b128 v[8:11], v24 offset:2160
	s_waitcnt lgkmcnt(0)
	v_add_f64 v[15:16], v[4:5], -v[8:9]
	v_add_f64 v[17:18], v[6:7], v[10:11]
	v_add_f64 v[6:7], v[6:7], -v[10:11]
	v_add_f64 v[4:5], v[4:5], v[8:9]
	v_mul_f64 v[10:11], v[15:16], 0.5
	v_mul_f64 v[15:16], v[17:18], 0.5
	;; [unrolled: 1-line block ×3, first 2 shown]
	s_waitcnt vmcnt(0)
	v_mul_f64 v[8:9], v[10:11], v[2:3]
	v_fma_f64 v[17:18], v[15:16], v[2:3], v[6:7]
	v_fma_f64 v[2:3], v[15:16], v[2:3], -v[6:7]
	v_fma_f64 v[6:7], v[4:5], 0.5, v[8:9]
	v_fma_f64 v[22:23], v[4:5], 0.5, -v[8:9]
	v_fma_f64 v[4:5], -v[0:1], v[10:11], v[17:18]
	v_fma_f64 v[8:9], -v[0:1], v[10:11], v[2:3]
	v_fma_f64 v[2:3], v[15:16], v[0:1], v[6:7]
	v_fma_f64 v[6:7], -v[15:16], v[0:1], v[22:23]
	ds_write_b128 v21, v[2:5] offset:1728
	ds_write_b128 v24, v[6:9] offset:2160
.LBB0_10:
	s_or_b64 exec, exec, s[6:7]
	s_waitcnt lgkmcnt(0)
	s_barrier
	s_and_saveexec_b64 s[0:1], vcc
	s_cbranch_execz .LBB0_13
; %bb.11:
	v_mad_u64_u32 v[0:1], s[0:1], s2, v14, 0
	s_load_dwordx2 s[0:1], s[4:5], 0x58
	v_mov_b32_e32 v13, 0
	v_mad_u64_u32 v[1:2], s[2:3], s3, v14, v[1:2]
	v_lshl_add_u32 v2, v12, 4, v20
	ds_read_b128 v[3:6], v2
	v_lshlrev_b64 v[0:1], 4, v[0:1]
	s_waitcnt lgkmcnt(0)
	v_mov_b32_e32 v7, s1
	v_add_co_u32_e32 v0, vcc, s0, v0
	v_addc_co_u32_e32 v1, vcc, v7, v1, vcc
	v_lshlrev_b64 v[7:8], 4, v[12:13]
	v_add_co_u32_e32 v14, vcc, v0, v7
	v_addc_co_u32_e32 v15, vcc, v1, v8, vcc
	ds_read_b128 v[7:10], v2 offset:432
	global_store_dwordx4 v[14:15], v[3:6], off
	s_nop 0
	v_add_u32_e32 v3, 27, v12
	v_mov_b32_e32 v4, v13
	v_lshlrev_b64 v[3:4], 4, v[3:4]
	v_add_co_u32_e32 v3, vcc, v0, v3
	v_addc_co_u32_e32 v4, vcc, v1, v4, vcc
	s_waitcnt lgkmcnt(0)
	global_store_dwordx4 v[3:4], v[7:10], off
	ds_read_b128 v[3:6], v2 offset:864
	v_add_u32_e32 v7, 54, v12
	v_mov_b32_e32 v8, v13
	v_lshlrev_b64 v[7:8], 4, v[7:8]
	v_add_co_u32_e32 v14, vcc, v0, v7
	v_addc_co_u32_e32 v15, vcc, v1, v8, vcc
	ds_read_b128 v[7:10], v2 offset:1296
	s_waitcnt lgkmcnt(1)
	global_store_dwordx4 v[14:15], v[3:6], off
	s_nop 0
	v_add_u32_e32 v3, 0x51, v12
	v_mov_b32_e32 v4, v13
	v_lshlrev_b64 v[3:4], 4, v[3:4]
	v_add_co_u32_e32 v3, vcc, v0, v3
	v_addc_co_u32_e32 v4, vcc, v1, v4, vcc
	s_waitcnt lgkmcnt(0)
	global_store_dwordx4 v[3:4], v[7:10], off
	ds_read_b128 v[3:6], v2 offset:1728
	v_add_u32_e32 v7, 0x6c, v12
	v_mov_b32_e32 v8, v13
	v_lshlrev_b64 v[7:8], 4, v[7:8]
	v_add_co_u32_e32 v14, vcc, v0, v7
	v_addc_co_u32_e32 v15, vcc, v1, v8, vcc
	ds_read_b128 v[7:10], v2 offset:2160
	s_waitcnt lgkmcnt(1)
	;; [unrolled: 17-line block ×3, first 2 shown]
	global_store_dwordx4 v[14:15], v[3:6], off
	s_nop 0
	v_add_u32_e32 v3, 0xbd, v12
	v_mov_b32_e32 v4, v13
	v_lshlrev_b64 v[3:4], 4, v[3:4]
	v_add_co_u32_e32 v3, vcc, v0, v3
	v_addc_co_u32_e32 v4, vcc, v1, v4, vcc
	s_waitcnt lgkmcnt(0)
	global_store_dwordx4 v[3:4], v[7:10], off
	ds_read_b128 v[3:6], v2 offset:3456
	v_add_u32_e32 v7, 0xd8, v12
	v_mov_b32_e32 v8, v13
	v_lshlrev_b64 v[7:8], 4, v[7:8]
	v_add_co_u32_e32 v7, vcc, v0, v7
	v_addc_co_u32_e32 v8, vcc, v1, v8, vcc
	v_cmp_eq_u32_e32 vcc, 26, v12
	s_waitcnt lgkmcnt(0)
	global_store_dwordx4 v[7:8], v[3:6], off
	s_and_b64 exec, exec, vcc
	s_cbranch_execz .LBB0_13
; %bb.12:
	ds_read_b128 v[2:5], v2 offset:3472
	s_waitcnt lgkmcnt(0)
	global_store_dwordx4 v[0:1], v[2:5], off offset:3888
.LBB0_13:
	s_endpgm
	.section	.rodata,"a",@progbits
	.p2align	6, 0x0
	.amdhsa_kernel fft_rtc_back_len243_factors_9_9_3_wgs_108_tpt_27_halfLds_dim1_dp_op_CI_CI_unitstride_sbrr_R2C_dirReg
		.amdhsa_group_segment_fixed_size 0
		.amdhsa_private_segment_fixed_size 0
		.amdhsa_kernarg_size 96
		.amdhsa_user_sgpr_count 6
		.amdhsa_user_sgpr_private_segment_buffer 1
		.amdhsa_user_sgpr_dispatch_ptr 0
		.amdhsa_user_sgpr_queue_ptr 0
		.amdhsa_user_sgpr_kernarg_segment_ptr 1
		.amdhsa_user_sgpr_dispatch_id 0
		.amdhsa_user_sgpr_flat_scratch_init 0
		.amdhsa_user_sgpr_private_segment_size 0
		.amdhsa_uses_dynamic_stack 0
		.amdhsa_system_sgpr_private_segment_wavefront_offset 0
		.amdhsa_system_sgpr_workgroup_id_x 1
		.amdhsa_system_sgpr_workgroup_id_y 0
		.amdhsa_system_sgpr_workgroup_id_z 0
		.amdhsa_system_sgpr_workgroup_info 0
		.amdhsa_system_vgpr_workitem_id 0
		.amdhsa_next_free_vgpr 80
		.amdhsa_next_free_sgpr 25
		.amdhsa_reserve_vcc 1
		.amdhsa_reserve_flat_scratch 0
		.amdhsa_float_round_mode_32 0
		.amdhsa_float_round_mode_16_64 0
		.amdhsa_float_denorm_mode_32 3
		.amdhsa_float_denorm_mode_16_64 3
		.amdhsa_dx10_clamp 1
		.amdhsa_ieee_mode 1
		.amdhsa_fp16_overflow 0
		.amdhsa_exception_fp_ieee_invalid_op 0
		.amdhsa_exception_fp_denorm_src 0
		.amdhsa_exception_fp_ieee_div_zero 0
		.amdhsa_exception_fp_ieee_overflow 0
		.amdhsa_exception_fp_ieee_underflow 0
		.amdhsa_exception_fp_ieee_inexact 0
		.amdhsa_exception_int_div_zero 0
	.end_amdhsa_kernel
	.text
.Lfunc_end0:
	.size	fft_rtc_back_len243_factors_9_9_3_wgs_108_tpt_27_halfLds_dim1_dp_op_CI_CI_unitstride_sbrr_R2C_dirReg, .Lfunc_end0-fft_rtc_back_len243_factors_9_9_3_wgs_108_tpt_27_halfLds_dim1_dp_op_CI_CI_unitstride_sbrr_R2C_dirReg
                                        ; -- End function
	.section	.AMDGPU.csdata,"",@progbits
; Kernel info:
; codeLenInByte = 5536
; NumSgprs: 29
; NumVgprs: 80
; ScratchSize: 0
; MemoryBound: 0
; FloatMode: 240
; IeeeMode: 1
; LDSByteSize: 0 bytes/workgroup (compile time only)
; SGPRBlocks: 3
; VGPRBlocks: 19
; NumSGPRsForWavesPerEU: 29
; NumVGPRsForWavesPerEU: 80
; Occupancy: 3
; WaveLimiterHint : 1
; COMPUTE_PGM_RSRC2:SCRATCH_EN: 0
; COMPUTE_PGM_RSRC2:USER_SGPR: 6
; COMPUTE_PGM_RSRC2:TRAP_HANDLER: 0
; COMPUTE_PGM_RSRC2:TGID_X_EN: 1
; COMPUTE_PGM_RSRC2:TGID_Y_EN: 0
; COMPUTE_PGM_RSRC2:TGID_Z_EN: 0
; COMPUTE_PGM_RSRC2:TIDIG_COMP_CNT: 0
	.type	__hip_cuid_81a168e613fe624a,@object ; @__hip_cuid_81a168e613fe624a
	.section	.bss,"aw",@nobits
	.globl	__hip_cuid_81a168e613fe624a
__hip_cuid_81a168e613fe624a:
	.byte	0                               ; 0x0
	.size	__hip_cuid_81a168e613fe624a, 1

	.ident	"AMD clang version 19.0.0git (https://github.com/RadeonOpenCompute/llvm-project roc-6.4.0 25133 c7fe45cf4b819c5991fe208aaa96edf142730f1d)"
	.section	".note.GNU-stack","",@progbits
	.addrsig
	.addrsig_sym __hip_cuid_81a168e613fe624a
	.amdgpu_metadata
---
amdhsa.kernels:
  - .args:
      - .actual_access:  read_only
        .address_space:  global
        .offset:         0
        .size:           8
        .value_kind:     global_buffer
      - .actual_access:  read_only
        .address_space:  global
        .offset:         8
        .size:           8
        .value_kind:     global_buffer
      - .actual_access:  read_only
        .address_space:  global
        .offset:         16
        .size:           8
        .value_kind:     global_buffer
      - .actual_access:  read_only
        .address_space:  global
        .offset:         24
        .size:           8
        .value_kind:     global_buffer
      - .offset:         32
        .size:           8
        .value_kind:     by_value
      - .actual_access:  read_only
        .address_space:  global
        .offset:         40
        .size:           8
        .value_kind:     global_buffer
      - .actual_access:  read_only
        .address_space:  global
        .offset:         48
        .size:           8
        .value_kind:     global_buffer
      - .offset:         56
        .size:           4
        .value_kind:     by_value
      - .actual_access:  read_only
        .address_space:  global
        .offset:         64
        .size:           8
        .value_kind:     global_buffer
      - .actual_access:  read_only
        .address_space:  global
        .offset:         72
        .size:           8
        .value_kind:     global_buffer
      - .actual_access:  read_only
        .address_space:  global
        .offset:         80
        .size:           8
        .value_kind:     global_buffer
      - .actual_access:  write_only
        .address_space:  global
        .offset:         88
        .size:           8
        .value_kind:     global_buffer
    .group_segment_fixed_size: 0
    .kernarg_segment_align: 8
    .kernarg_segment_size: 96
    .language:       OpenCL C
    .language_version:
      - 2
      - 0
    .max_flat_workgroup_size: 108
    .name:           fft_rtc_back_len243_factors_9_9_3_wgs_108_tpt_27_halfLds_dim1_dp_op_CI_CI_unitstride_sbrr_R2C_dirReg
    .private_segment_fixed_size: 0
    .sgpr_count:     29
    .sgpr_spill_count: 0
    .symbol:         fft_rtc_back_len243_factors_9_9_3_wgs_108_tpt_27_halfLds_dim1_dp_op_CI_CI_unitstride_sbrr_R2C_dirReg.kd
    .uniform_work_group_size: 1
    .uses_dynamic_stack: false
    .vgpr_count:     80
    .vgpr_spill_count: 0
    .wavefront_size: 64
amdhsa.target:   amdgcn-amd-amdhsa--gfx906
amdhsa.version:
  - 1
  - 2
...

	.end_amdgpu_metadata
